;; amdgpu-corpus repo=ROCm/rocFFT kind=compiled arch=gfx1030 opt=O3
	.text
	.amdgcn_target "amdgcn-amd-amdhsa--gfx1030"
	.amdhsa_code_object_version 6
	.protected	fft_rtc_fwd_len17_factors_17_wgs_120_tpt_1_half_op_CI_CI_sbrc_xy_z_diag_dirReg ; -- Begin function fft_rtc_fwd_len17_factors_17_wgs_120_tpt_1_half_op_CI_CI_sbrc_xy_z_diag_dirReg
	.globl	fft_rtc_fwd_len17_factors_17_wgs_120_tpt_1_half_op_CI_CI_sbrc_xy_z_diag_dirReg
	.p2align	8
	.type	fft_rtc_fwd_len17_factors_17_wgs_120_tpt_1_half_op_CI_CI_sbrc_xy_z_diag_dirReg,@function
fft_rtc_fwd_len17_factors_17_wgs_120_tpt_1_half_op_CI_CI_sbrc_xy_z_diag_dirReg: ; @fft_rtc_fwd_len17_factors_17_wgs_120_tpt_1_half_op_CI_CI_sbrc_xy_z_diag_dirReg
; %bb.0:
	s_clause 0x1
	s_load_dwordx8 s[8:15], s[4:5], 0x8
	s_load_dwordx4 s[0:3], s[4:5], 0x58
	v_mov_b32_e32 v23, 0xf10
	v_mul_u32_u24_e32 v1, 0xf10, v0
	v_add_nc_u16 v3, v0, 0x78
	v_add_nc_u16 v6, v0, 0x1e0
	;; [unrolled: 1-line block ×4, first 2 shown]
	v_lshrrev_b32_e32 v24, 16, v1
	v_mul_u32_u24_sdwa v1, v3, v23 dst_sel:DWORD dst_unused:UNUSED_PAD src0_sel:WORD_0 src1_sel:DWORD
	v_mul_u32_u24_sdwa v11, v6, v23 dst_sel:DWORD dst_unused:UNUSED_PAD src0_sel:WORD_0 src1_sel:DWORD
	;; [unrolled: 1-line block ×3, first 2 shown]
	v_add_nc_u16 v7, v0, 0x258
	v_mul_u32_u24_sdwa v10, v5, v23 dst_sel:DWORD dst_unused:UNUSED_PAD src0_sel:WORD_0 src1_sel:DWORD
	v_lshrrev_b32_e32 v30, 16, v1
	v_lshrrev_b32_e32 v27, 16, v11
	v_lshrrev_b32_e32 v25, 16, v9
	v_mov_b32_e32 v2, 0
	v_mul_u32_u24_sdwa v12, v7, v23 dst_sel:DWORD dst_unused:UNUSED_PAD src0_sel:WORD_0 src1_sel:DWORD
	v_lshrrev_b32_e32 v26, 16, v10
	s_waitcnt lgkmcnt(0)
	s_load_dwordx4 s[16:19], s[10:11], 0x8
	s_load_dword s21, s[12:13], 0x10
	v_mul_lo_u16 v9, v25, 17
	v_add_nc_u16 v37, v0, 0x2d0
	v_mul_lo_u16 v14, v24, 17
	v_lshrrev_b32_e32 v28, 16, v12
	v_mul_lo_u16 v10, v26, 17
	v_sub_nc_u16 v32, v4, v9
	v_mul_lo_u16 v12, v27, 17
	v_mul_u32_u24_sdwa v13, v37, v23 dst_sel:DWORD dst_unused:UNUSED_PAD src0_sel:WORD_0 src1_sel:DWORD
	v_sub_nc_u16 v31, v0, v14
	v_sub_nc_u16 v33, v5, v10
	v_and_b32_e32 v43, 0xffff, v32
	v_sub_nc_u16 v35, v6, v12
	v_lshrrev_b32_e32 v29, 16, v13
	v_mul_lo_u16 v13, v28, 17
	v_and_b32_e32 v21, 0xffff, v31
	v_and_b32_e32 v44, 0xffff, v33
	;; [unrolled: 1-line block ×3, first 2 shown]
	s_mov_b32 s11, 0
	s_waitcnt lgkmcnt(0)
	s_add_i32 s4, s18, -1
	v_sub_nc_u16 v36, v7, v13
	s_mul_hi_u32 s4, s4, 0x88888889
	v_mul_lo_u16 v38, v29, 17
	s_lshr_b32 s4, s4, 6
	v_add_nc_u16 v47, v0, 0x618
	s_add_i32 s4, s4, 1
	v_and_b32_e32 v39, 0xffff, v36
	s_mul_i32 s4, s4, s16
	v_sub_nc_u16 v54, v37, v38
	v_cvt_f32_u32_e32 v8, s4
	s_sub_i32 s7, 0, s4
	v_rcp_iflag_f32_e32 v8, v8
	v_mul_f32_e32 v1, 0x4f7ffffe, v8
	v_mul_lo_u16 v8, v30, 17
	v_cvt_u32_f32_e32 v11, v1
	v_sub_nc_u16 v34, v3, v8
	v_readfirstlane_b32 s5, v11
	v_and_b32_e32 v42, 0xffff, v34
	s_mul_i32 s7, s7, s5
	s_mul_hi_u32 s7, s5, s7
	s_add_i32 s5, s5, s7
	s_mul_hi_u32 s5, s6, s5
	s_mul_i32 s7, s5, s4
	s_add_i32 s10, s5, 1
	s_sub_i32 s7, s6, s7
	s_sub_i32 s16, s7, s4
	s_cmp_ge_u32 s7, s4
	s_cselect_b32 s5, s10, s5
	s_cselect_b32 s7, s16, s7
	s_add_i32 s10, s5, 1
	s_cmp_ge_u32 s7, s4
	s_load_dwordx4 s[16:19], s[12:13], 0x0
	s_cselect_b32 s20, s10, s5
	s_mul_i32 s4, s20, s4
	s_sub_i32 s6, s6, s4
	s_mul_hi_u32 s4, s6, 0xf0f0f0f1
	s_lshr_b32 s4, s4, 4
	s_mul_i32 s7, s4, 17
	s_lshl_b64 s[4:5], s[8:9], 3
	s_waitcnt lgkmcnt(0)
	s_sub_i32 s19, s6, s7
	s_add_u32 s6, s12, s4
	s_addc_u32 s7, s13, s5
	s_load_dwordx2 s[6:7], s[6:7], 0x0
	v_mul_lo_u32 v1, s21, v24
	v_mad_u64_u32 v[19:20], null, s16, v21, 0
	v_mad_u64_u32 v[40:41], null, s16, v42, 0
	;; [unrolled: 1-line block ×3, first 2 shown]
	v_lshlrev_b64 v[3:4], 2, v[1:2]
	v_mul_lo_u32 v1, s21, v30
	v_mad_u64_u32 v[15:16], null, s16, v44, 0
	s_mul_i32 s10, s19, s18
	v_mad_u64_u32 v[13:14], null, s16, v45, 0
	v_mad_u64_u32 v[9:10], null, s16, v39, 0
	v_lshlrev_b64 v[5:6], 2, v[1:2]
	v_mul_lo_u32 v1, s21, v25
	s_waitcnt lgkmcnt(0)
	s_mul_i32 s7, s7, s20
	s_mul_hi_u32 s8, s6, s20
	s_mul_i32 s6, s6, s20
	s_add_i32 s7, s8, s7
	s_add_u32 s4, s14, s4
	s_addc_u32 s5, s15, s5
	s_lshl_b64 s[12:13], s[6:7], 2
	v_lshlrev_b64 v[7:8], 2, v[1:2]
	v_mul_lo_u32 v1, s21, v26
	s_clause 0x1
	s_load_dwordx2 s[8:9], s[4:5], 0x0
	s_load_dwordx4 s[4:7], s[14:15], 0x0
	v_lshlrev_b64 v[11:12], 2, v[1:2]
	v_mov_b32_e32 v1, v20
	v_mov_b32_e32 v20, v41
	v_mad_u64_u32 v[21:22], null, s17, v21, v[1:2]
	s_waitcnt lgkmcnt(0)
	s_mul_i32 s7, s9, s20
	v_mad_u64_u32 v[41:42], null, s17, v42, v[20:21]
	v_mad_u64_u32 v[42:43], null, s17, v43, v[18:19]
	v_mov_b32_e32 v20, v21
	v_mad_u64_u32 v[43:44], null, s17, v44, v[16:17]
	s_mul_hi_u32 s9, s8, s20
	v_mad_u64_u32 v[44:45], null, s17, v45, v[14:15]
	v_lshlrev_b64 v[21:22], 2, v[19:20]
	s_add_i32 s9, s9, s7
	v_mov_b32_e32 v18, v42
	s_add_u32 s7, s0, s12
	s_addc_u32 s12, s1, s13
	s_lshl_b64 s[0:1], s[10:11], 2
	v_lshlrev_b64 v[19:20], 2, v[40:41]
	v_mov_b32_e32 v16, v43
	s_add_u32 s0, s7, s0
	v_lshlrev_b64 v[17:18], 2, v[17:18]
	s_addc_u32 s1, s12, s1
	v_add_co_u32 v1, vcc_lo, s0, v21
	v_add_co_ci_u32_e32 v21, vcc_lo, s1, v22, vcc_lo
	v_lshlrev_b64 v[15:16], 2, v[15:16]
	v_add_co_u32 v19, vcc_lo, s0, v19
	v_add_co_ci_u32_e32 v20, vcc_lo, s1, v20, vcc_lo
	v_add_co_u32 v17, vcc_lo, s0, v17
	v_add_co_ci_u32_e32 v18, vcc_lo, s1, v18, vcc_lo
	;; [unrolled: 2-line block ×4, first 2 shown]
	v_mov_b32_e32 v14, v44
	v_add_co_u32 v5, vcc_lo, v19, v5
	v_add_co_ci_u32_e32 v6, vcc_lo, v20, v6, vcc_lo
	v_add_co_u32 v7, vcc_lo, v17, v7
	v_add_co_ci_u32_e32 v8, vcc_lo, v18, v8, vcc_lo
	v_mul_lo_u32 v1, s21, v27
	v_lshlrev_b64 v[13:14], 2, v[13:14]
	v_add_co_u32 v11, vcc_lo, v15, v11
	v_add_nc_u16 v20, v0, 0x348
	v_and_b32_e32 v18, 0xffff, v54
	v_add_co_ci_u32_e32 v12, vcc_lo, v16, v12, vcc_lo
	v_mad_u64_u32 v[15:16], null, s17, v39, v[10:11]
	v_add_co_u32 v19, vcc_lo, s0, v13
	v_mul_u32_u24_sdwa v22, v20, v23 dst_sel:DWORD dst_unused:UNUSED_PAD src0_sel:WORD_0 src1_sel:DWORD
	v_add_co_ci_u32_e32 v21, vcc_lo, s1, v14, vcc_lo
	v_lshlrev_b64 v[13:14], 2, v[1:2]
	v_mad_u64_u32 v[16:17], null, s16, v18, 0
	v_lshrrev_b32_e32 v55, 16, v22
	v_mov_b32_e32 v10, v15
	v_mul_lo_u32 v1, s21, v28
	v_add_co_u32 v13, vcc_lo, v19, v13
	v_add_co_ci_u32_e32 v14, vcc_lo, v21, v14, vcc_lo
	v_mov_b32_e32 v15, v17
	v_mul_lo_u16 v21, v55, 17
	v_add_nc_u16 v22, v0, 0x3c0
	v_lshlrev_b64 v[9:10], 2, v[9:10]
	v_add_nc_u16 v41, v0, 0x4b0
	v_mad_u64_u32 v[17:18], null, s17, v18, v[15:16]
	v_sub_nc_u16 v56, v20, v21
	v_lshlrev_b64 v[18:19], 2, v[1:2]
	v_mul_u32_u24_sdwa v1, v22, v23 dst_sel:DWORD dst_unused:UNUSED_PAD src0_sel:WORD_0 src1_sel:DWORD
	v_add_co_u32 v9, vcc_lo, s0, v9
	v_and_b32_e32 v20, 0xffff, v56
	v_add_co_ci_u32_e32 v10, vcc_lo, s1, v10, vcc_lo
	v_lshrrev_b32_e32 v57, 16, v1
	v_add_co_u32 v9, vcc_lo, v9, v18
	v_lshlrev_b64 v[15:16], 2, v[16:17]
	v_mad_u64_u32 v[17:18], null, s16, v20, 0
	v_add_co_ci_u32_e32 v10, vcc_lo, v10, v19, vcc_lo
	v_mul_lo_u16 v19, v57, 17
	v_mul_lo_u32 v1, s21, v29
	v_add_co_u32 v37, vcc_lo, s0, v15
	v_mov_b32_e32 v15, v18
	v_sub_nc_u16 v58, v22, v19
	v_add_nc_u16 v22, v0, 0x438
	v_add_co_ci_u32_e32 v38, vcc_lo, s1, v16, vcc_lo
	v_lshlrev_b64 v[18:19], 2, v[1:2]
	v_mad_u64_u32 v[15:16], null, s17, v20, v[15:16]
	v_mul_u32_u24_sdwa v1, v22, v23 dst_sel:DWORD dst_unused:UNUSED_PAD src0_sel:WORD_0 src1_sel:DWORD
	v_and_b32_e32 v39, 0xffff, v58
	v_add_nc_u16 v44, v0, 0x528
	v_add_co_u32 v37, vcc_lo, v37, v18
	v_lshrrev_b32_e32 v59, 16, v1
	v_mad_u64_u32 v[20:21], null, s16, v39, 0
	v_mov_b32_e32 v18, v15
	v_mul_lo_u32 v1, s21, v55
	v_mul_lo_u16 v16, v59, 17
	v_add_co_ci_u32_e32 v38, vcc_lo, v38, v19, vcc_lo
	v_add_nc_u16 v45, v0, 0x5a0
	v_mov_b32_e32 v15, v21
	v_sub_nc_u16 v60, v22, v16
	v_lshlrev_b64 v[16:17], 2, v[17:18]
	v_mul_u32_u24_sdwa v21, v41, v23 dst_sel:DWORD dst_unused:UNUSED_PAD src0_sel:WORD_0 src1_sel:DWORD
	s_mul_i32 s8, s8, s20
	v_and_b32_e32 v22, 0xffff, v60
	v_mad_u64_u32 v[18:19], null, s17, v39, v[15:16]
	v_lshrrev_b32_e32 v61, 16, v21
	v_add_co_u32 v19, vcc_lo, s0, v16
	v_lshlrev_b64 v[15:16], 2, v[1:2]
	v_mad_u64_u32 v[39:40], null, s16, v22, 0
	v_mul_lo_u16 v42, v61, 17
	v_mov_b32_e32 v21, v18
	v_add_co_ci_u32_e32 v17, vcc_lo, s1, v17, vcc_lo
	v_add_co_u32 v15, vcc_lo, v19, v15
	v_sub_nc_u16 v62, v41, v42
	v_lshlrev_b64 v[18:19], 2, v[20:21]
	v_add_co_ci_u32_e32 v16, vcc_lo, v17, v16, vcc_lo
	v_mov_b32_e32 v17, v40
	v_mul_lo_u32 v1, s21, v57
	v_and_b32_e32 v43, 0xffff, v62
	v_mad_u64_u32 v[20:21], null, s17, v22, v[17:18]
	v_mul_u32_u24_sdwa v17, v44, v23 dst_sel:DWORD dst_unused:UNUSED_PAD src0_sel:WORD_0 src1_sel:DWORD
	v_mad_u64_u32 v[21:22], null, s16, v43, 0
	v_lshlrev_b64 v[41:42], 2, v[1:2]
	v_add_co_u32 v18, vcc_lo, s0, v18
	v_lshrrev_b32_e32 v63, 16, v17
	v_add_co_ci_u32_e32 v19, vcc_lo, s1, v19, vcc_lo
	v_mov_b32_e32 v1, v22
	v_add_co_u32 v17, vcc_lo, v18, v41
	v_mul_lo_u16 v22, v63, 17
	v_mul_u32_u24_sdwa v41, v45, v23 dst_sel:DWORD dst_unused:UNUSED_PAD src0_sel:WORD_0 src1_sel:DWORD
	v_mov_b32_e32 v40, v20
	v_add_co_ci_u32_e32 v18, vcc_lo, v19, v42, vcc_lo
	v_sub_nc_u16 v64, v44, v22
	v_lshrrev_b32_e32 v65, 16, v41
	v_lshlrev_b64 v[19:20], 2, v[39:40]
	v_mad_u64_u32 v[39:40], null, s17, v43, v[1:2]
	v_mul_lo_u32 v1, s21, v59
	v_and_b32_e32 v46, 0xffff, v64
	v_mul_lo_u16 v43, v65, 17
	v_add_co_u32 v41, vcc_lo, s0, v19
	v_add_co_ci_u32_e32 v42, vcc_lo, s1, v20, vcc_lo
	v_mov_b32_e32 v22, v39
	v_lshlrev_b64 v[19:20], 2, v[1:2]
	v_mul_lo_u32 v1, s21, v61
	v_mad_u64_u32 v[39:40], null, s16, v46, 0
	v_sub_nc_u16 v66, v45, v43
	v_lshlrev_b64 v[21:22], 2, v[21:22]
	v_add_co_u32 v19, vcc_lo, v41, v19
	v_add_co_ci_u32_e32 v20, vcc_lo, v42, v20, vcc_lo
	v_and_b32_e32 v48, 0xffff, v66
	v_lshlrev_b64 v[41:42], 2, v[1:2]
	v_mov_b32_e32 v1, v40
	v_mul_u32_u24_sdwa v40, v47, v23 dst_sel:DWORD dst_unused:UNUSED_PAD src0_sel:WORD_0 src1_sel:DWORD
	v_mad_u64_u32 v[43:44], null, s16, v48, 0
	v_mad_u64_u32 v[45:46], null, s17, v46, v[1:2]
	v_lshrrev_b32_e32 v67, 16, v40
	v_add_co_u32 v46, vcc_lo, s0, v21
	v_add_co_ci_u32_e32 v49, vcc_lo, s1, v22, vcc_lo
	v_mov_b32_e32 v21, v44
	v_mul_lo_u16 v44, v67, 17
	v_mov_b32_e32 v40, v45
	v_mul_lo_u32 v1, s21, v63
	v_add_co_u32 v41, vcc_lo, v46, v41
	v_sub_nc_u16 v68, v47, v44
	v_mad_u64_u32 v[21:22], null, s17, v48, v[21:22]
	v_add_co_ci_u32_e32 v42, vcc_lo, v49, v42, vcc_lo
	v_add_nc_u16 v49, v0, 0x690
	v_lshlrev_b64 v[39:40], 2, v[39:40]
	v_and_b32_e32 v47, 0xffff, v68
	v_lshlrev_b64 v[45:46], 2, v[1:2]
	v_mov_b32_e32 v44, v21
	v_mul_u32_u24_sdwa v51, v49, v23 dst_sel:DWORD dst_unused:UNUSED_PAD src0_sel:WORD_0 src1_sel:DWORD
	v_mul_lo_u32 v1, s21, v65
	v_add_co_u32 v48, vcc_lo, s0, v39
	v_mad_u64_u32 v[21:22], null, s16, v47, 0
	v_add_co_ci_u32_e32 v50, vcc_lo, s1, v40, vcc_lo
	v_lshrrev_b32_e32 v69, 16, v51
	v_lshlrev_b64 v[39:40], 2, v[43:44]
	v_add_co_u32 v43, vcc_lo, v48, v45
	v_add_co_ci_u32_e32 v44, vcc_lo, v50, v46, vcc_lo
	v_add_nc_u16 v50, v0, 0x708
	v_lshlrev_b64 v[45:46], 2, v[1:2]
	v_mul_lo_u16 v1, v69, 17
	v_or_b32_e32 v51, 0x780, v0
	v_mad_u64_u32 v[47:48], null, s17, v47, v[22:23]
	v_mul_u32_u24_sdwa v48, v50, v23 dst_sel:DWORD dst_unused:UNUSED_PAD src0_sel:WORD_0 src1_sel:DWORD
	v_sub_nc_u16 v70, v49, v1
	v_mul_u32_u24_sdwa v1, v51, v23 dst_sel:DWORD dst_unused:UNUSED_PAD src0_sel:WORD_0 src1_sel:DWORD
	v_add_co_u32 v39, vcc_lo, s0, v39
	v_lshrrev_b32_e32 v71, 16, v48
	v_mov_b32_e32 v22, v47
	v_add_co_ci_u32_e32 v40, vcc_lo, s1, v40, vcc_lo
	v_and_b32_e32 v47, 0xffff, v70
	v_lshrrev_b32_e32 v72, 16, v1
	v_add_co_u32 v39, vcc_lo, v39, v45
	v_lshlrev_b64 v[21:22], 2, v[21:22]
	v_mul_lo_u16 v23, v71, 17
	v_mul_lo_u32 v1, s21, v67
	v_add_co_ci_u32_e32 v40, vcc_lo, v40, v46, vcc_lo
	v_mad_u64_u32 v[45:46], null, s16, v47, 0
	v_mul_lo_u16 v48, v72, 17
	v_sub_nc_u16 v73, v50, v23
	v_add_co_u32 v49, vcc_lo, s0, v21
	v_add_co_ci_u32_e32 v50, vcc_lo, s1, v22, vcc_lo
	v_sub_nc_u16 v74, v51, v48
	v_lshlrev_b64 v[22:23], 2, v[1:2]
	v_mov_b32_e32 v21, v46
	v_and_b32_e32 v52, 0xffff, v73
	v_and_b32_e32 v53, 0xffff, v74
	v_mad_u64_u32 v[46:47], null, s17, v47, v[21:22]
	v_add_co_u32 v21, vcc_lo, v49, v22
	v_mad_u64_u32 v[47:48], null, s16, v52, 0
	v_add_co_ci_u32_e32 v22, vcc_lo, v50, v23, vcc_lo
	v_mad_u64_u32 v[49:50], null, s16, v53, 0
	v_lshlrev_b64 v[45:46], 2, v[45:46]
	v_mov_b32_e32 v1, v48
	v_mov_b32_e32 v23, v50
	v_mad_u64_u32 v[51:52], null, s17, v52, v[1:2]
	v_mul_lo_u32 v1, s21, v69
	v_mad_u64_u32 v[52:53], null, s17, v53, v[23:24]
	s_clause 0x5
	global_load_dword v23, v[3:4], off
	global_load_dword v53, v[5:6], off
	;; [unrolled: 1-line block ×6, first 2 shown]
	v_add_co_u32 v5, vcc_lo, s0, v45
	s_clause 0x1
	global_load_dword v37, v[37:38], off
	global_load_dword v15, v[15:16], off
	v_lshlrev_b64 v[3:4], 2, v[1:2]
	v_mul_lo_u32 v1, s21, v71
	v_add_co_ci_u32_e32 v6, vcc_lo, s1, v46, vcc_lo
	v_mov_b32_e32 v48, v51
	v_mov_b32_e32 v50, v52
	v_add_co_u32 v3, vcc_lo, v5, v3
	v_add_co_ci_u32_e32 v4, vcc_lo, v6, v4, vcc_lo
	v_lshlrev_b64 v[5:6], 2, v[47:48]
	s_clause 0x3
	global_load_dword v16, v[17:18], off
	global_load_dword v17, v[19:20], off
	;; [unrolled: 1-line block ×4, first 2 shown]
	v_lshlrev_b64 v[7:8], 2, v[1:2]
	v_mul_lo_u32 v1, s21, v72
	v_lshlrev_b64 v[9:10], 2, v[49:50]
	v_mad_u16 v20, 0x78, v36, v28
	v_add_co_u32 v13, vcc_lo, s0, v5
	v_add_co_ci_u32_e32 v14, vcc_lo, s1, v6, vcc_lo
	v_add_co_u32 v9, vcc_lo, s0, v9
	v_lshlrev_b64 v[5:6], 2, v[1:2]
	global_load_dword v1, v[39:40], off
	v_add_co_ci_u32_e32 v10, vcc_lo, s1, v10, vcc_lo
	v_add_co_u32 v7, vcc_lo, v13, v7
	v_add_co_ci_u32_e32 v8, vcc_lo, v14, v8, vcc_lo
	v_add_co_u32 v5, vcc_lo, v9, v5
	v_add_co_ci_u32_e32 v6, vcc_lo, v10, v6, vcc_lo
	s_clause 0x3
	global_load_dword v9, v[21:22], off
	global_load_dword v3, v[3:4], off
	;; [unrolled: 1-line block ×4, first 2 shown]
	v_mul_u32_u24_e32 v6, 0x223, v0
	v_mad_u16 v7, 0x78, v32, v25
	v_mad_u16 v8, 0x78, v33, v26
	;; [unrolled: 1-line block ×4, first 2 shown]
	v_lshrrev_b32_e32 v13, 16, v6
	v_and_b32_e32 v7, 0xffff, v7
	v_and_b32_e32 v8, 0xffff, v8
	;; [unrolled: 1-line block ×3, first 2 shown]
	v_mad_u16 v22, 0x78, v56, v55
	v_mul_lo_u16 v6, 0x78, v13
	v_and_b32_e32 v20, 0xffff, v20
	v_lshl_add_u32 v7, v7, 2, 0
	v_lshl_add_u32 v8, v8, 2, 0
	;; [unrolled: 1-line block ×3, first 2 shown]
	v_sub_nc_u16 v0, v0, v6
	v_mul_lo_u16 v6, 0x78, v31
	s_load_dword s0, s[14:15], 0x10
	v_and_b32_e32 v21, 0xffff, v21
	v_lshl_add_u32 v20, v20, 2, 0
	v_and_b32_e32 v14, 0xffff, v0
	v_or_b32_e32 v0, v6, v24
	v_mad_u16 v6, 0x78, v34, v30
	v_lshl_add_u32 v21, v21, 2, 0
	v_and_b32_e32 v0, 0xffff, v0
	v_and_b32_e32 v6, 0xffff, v6
	v_lshl_add_u32 v0, v0, 2, 0
	v_lshl_add_u32 v6, v6, 2, 0
	s_waitcnt vmcnt(16)
	ds_write_b32 v0, v23
	s_waitcnt vmcnt(15)
	ds_write_b32 v6, v53
	;; [unrolled: 2-line block ×6, first 2 shown]
	v_and_b32_e32 v0, 0xffff, v22
	v_mad_u16 v6, 0x78, v58, v57
	v_mad_u16 v7, 0x78, v60, v59
	;; [unrolled: 1-line block ×4, first 2 shown]
	v_lshl_add_u32 v0, v0, 2, 0
	v_and_b32_e32 v6, 0xffff, v6
	v_and_b32_e32 v7, 0xffff, v7
	;; [unrolled: 1-line block ×3, first 2 shown]
	s_waitcnt vmcnt(10)
	ds_write_b32 v21, v37
	s_waitcnt vmcnt(9)
	ds_write_b32 v0, v15
	v_lshl_add_u32 v0, v6, 2, 0
	v_and_b32_e32 v6, 0xffff, v10
	v_lshl_add_u32 v7, v7, 2, 0
	v_mad_u16 v10, 0x78, v66, v65
	v_lshl_add_u32 v8, v8, 2, 0
	s_waitcnt vmcnt(8)
	ds_write_b32 v0, v16
	v_lshl_add_u32 v0, v6, 2, 0
	s_waitcnt vmcnt(7)
	ds_write_b32 v7, v17
	s_waitcnt vmcnt(6)
	ds_write_b32 v8, v18
	v_and_b32_e32 v6, 0xffff, v10
	v_mad_u16 v7, 0x78, v68, v67
	v_mad_u16 v8, 0x78, v73, v71
	;; [unrolled: 1-line block ×3, first 2 shown]
	s_waitcnt vmcnt(5)
	ds_write_b32 v0, v19
	v_lshl_add_u32 v6, v6, 2, 0
	v_and_b32_e32 v7, 0xffff, v7
	v_and_b32_e32 v8, 0xffff, v8
	v_mad_u16 v0, 0x78, v70, v69
	s_waitcnt lgkmcnt(0)
	s_mul_i32 s10, s19, s0
	s_waitcnt vmcnt(4)
	ds_write_b32 v6, v1
	v_lshl_add_u32 v1, v7, 2, 0
	v_and_b32_e32 v6, 0xffff, v10
	v_lshl_add_u32 v7, v8, 2, 0
	v_mul_u32_u24_e32 v8, 0x1e0, v13
	v_lshlrev_b32_e32 v10, 2, v14
	v_and_b32_e32 v0, 0xffff, v0
	v_lshl_add_u32 v6, v6, 2, 0
	s_lshl_b64 s[0:1], s[10:11], 2
	v_add3_u32 v17, 0, v8, v10
	v_lshl_add_u32 v0, v0, 2, 0
	s_waitcnt vmcnt(3)
	ds_write_b32 v1, v9
	s_waitcnt vmcnt(2)
	ds_write_b32 v0, v3
	;; [unrolled: 2-line block ×4, first 2 shown]
	s_waitcnt lgkmcnt(0)
	s_barrier
	buffer_gl0_inv
	ds_read2_b32 v[15:16], v17 offset1:120
	v_add_nc_u32_e32 v0, 0x200, v17
	ds_read2_b32 v[11:12], v0 offset0:112 offset1:232
	v_add_nc_u32_e32 v0, 0x600, v17
	ds_read2_b32 v[7:8], v0 offset0:96 offset1:216
	;; [unrolled: 2-line block ×3, first 2 shown]
	s_waitcnt lgkmcnt(3)
	v_add_f16_e32 v1, v16, v15
	v_add_f16_sdwa v5, v16, v15 dst_sel:DWORD dst_unused:UNUSED_PAD src0_sel:WORD_1 src1_sel:WORD_1
	s_waitcnt lgkmcnt(2)
	v_add_f16_e32 v0, v1, v11
	v_add_f16_sdwa v1, v5, v11 dst_sel:DWORD dst_unused:UNUSED_PAD src0_sel:DWORD src1_sel:WORD_1
	v_add_nc_u32_e32 v5, 0xe00, v17
	v_add_f16_e32 v6, v0, v12
	v_add_f16_sdwa v9, v1, v12 dst_sel:DWORD dst_unused:UNUSED_PAD src0_sel:DWORD src1_sel:WORD_1
	ds_read2_b32 v[0:1], v5 offset0:64 offset1:184
	s_waitcnt lgkmcnt(2)
	v_add_f16_e32 v5, v6, v7
	v_add_f16_sdwa v6, v9, v7 dst_sel:DWORD dst_unused:UNUSED_PAD src0_sel:DWORD src1_sel:WORD_1
	v_add_nc_u32_e32 v9, 0x1200, v17
	v_add_f16_e32 v10, v5, v8
	v_add_f16_sdwa v18, v6, v8 dst_sel:DWORD dst_unused:UNUSED_PAD src0_sel:DWORD src1_sel:WORD_1
	ds_read2_b32 v[5:6], v9 offset0:48 offset1:168
	;; [unrolled: 7-line block ×3, first 2 shown]
	s_waitcnt lgkmcnt(2)
	v_add_f16_e32 v18, v19, v0
	v_add_f16_sdwa v19, v20, v0 dst_sel:DWORD dst_unused:UNUSED_PAD src0_sel:DWORD src1_sel:WORD_1
	v_add_nc_u32_e32 v20, 0x1a00, v17
	v_add_f16_e32 v21, v18, v1
	v_add_f16_sdwa v19, v19, v1 dst_sel:DWORD dst_unused:UNUSED_PAD src0_sel:DWORD src1_sel:WORD_1
	ds_read_b32 v22, v17 offset:7680
	ds_read2_b32 v[17:18], v20 offset0:16 offset1:136
	s_waitcnt lgkmcnt(3)
	v_add_f16_e32 v20, v21, v5
	v_add_f16_sdwa v19, v19, v5 dst_sel:DWORD dst_unused:UNUSED_PAD src0_sel:DWORD src1_sel:WORD_1
	v_add_f16_e32 v20, v20, v6
	v_add_f16_sdwa v19, v19, v6 dst_sel:DWORD dst_unused:UNUSED_PAD src0_sel:DWORD src1_sel:WORD_1
	s_waitcnt lgkmcnt(2)
	v_add_f16_e32 v20, v20, v9
	v_add_f16_sdwa v19, v19, v9 dst_sel:DWORD dst_unused:UNUSED_PAD src0_sel:DWORD src1_sel:WORD_1
	v_add_f16_e32 v20, v20, v10
	v_add_f16_sdwa v19, v19, v10 dst_sel:DWORD dst_unused:UNUSED_PAD src0_sel:DWORD src1_sel:WORD_1
	s_waitcnt lgkmcnt(1)
	v_sub_f16_sdwa v21, v16, v22 dst_sel:DWORD dst_unused:UNUSED_PAD src0_sel:WORD_1 src1_sel:WORD_1
	v_add_f16_e32 v23, v22, v16
	v_sub_f16_e32 v25, v16, v22
	s_waitcnt lgkmcnt(0)
	v_add_f16_e32 v20, v20, v17
	v_add_f16_sdwa v19, v19, v17 dst_sel:DWORD dst_unused:UNUSED_PAD src0_sel:DWORD src1_sel:WORD_1
	v_mul_f16_e32 v24, 0xb5c8, v21
	v_add_f16_sdwa v16, v22, v16 dst_sel:DWORD dst_unused:UNUSED_PAD src0_sel:WORD_1 src1_sel:WORD_1
	v_mul_f16_e32 v32, 0xbb29, v21
	v_add_f16_e32 v20, v20, v18
	v_add_f16_sdwa v19, v19, v18 dst_sel:DWORD dst_unused:UNUSED_PAD src0_sel:DWORD src1_sel:WORD_1
	v_fma_f16 v26, v23, 0x3b76, -v24
	v_mul_f16_e32 v35, 0xbbf7, v21
	v_mul_f16_e32 v39, 0xbbb2, v21
	v_add_f16_e32 v20, v20, v22
	v_add_f16_sdwa v19, v19, v22 dst_sel:WORD_1 dst_unused:UNUSED_PAD src0_sel:DWORD src1_sel:WORD_1
	v_add_f16_e32 v22, v26, v15
	v_mul_f16_e32 v26, 0xb964, v21
	v_mul_f16_e32 v44, 0xba62, v21
	;; [unrolled: 1-line block ×5, first 2 shown]
	v_fmac_f16_e32 v24, 0x3b76, v23
	v_mul_f16_e32 v29, 0xb964, v25
	v_fma_f16 v30, v23, 0x39e9, -v26
	v_fmac_f16_e32 v26, 0x39e9, v23
	v_mul_f16_e32 v33, 0xbb29, v25
	v_fma_f16 v34, v23, 0x3722, -v32
	v_fmac_f16_e32 v32, 0x3722, v23
	v_fma_f16 v37, v23, 0x2de8, -v35
	v_mul_f16_e32 v38, 0xbbf7, v25
	v_fmac_f16_e32 v35, 0x2de8, v23
	v_mul_f16_e32 v41, 0xbbb2, v25
	v_fma_f16 v42, v23, 0xb461, -v39
	v_fmac_f16_e32 v39, 0xb461, v23
	v_mul_f16_e32 v45, 0xba62, v25
	v_fma_f16 v46, v23, 0xb8d2, -v44
	v_fmac_f16_e32 v44, 0xb8d2, v23
	v_fma_f16 v49, v23, 0xbacd, -v47
	v_mul_f16_e32 v50, 0xb836, v25
	v_mul_f16_e32 v25, 0xb1e1, v25
	v_fmac_f16_e32 v47, 0xbacd, v23
	v_fma_f16 v52, v23, 0xbbdd, -v21
	v_sub_f16_sdwa v54, v11, v18 dst_sel:DWORD dst_unused:UNUSED_PAD src0_sel:WORD_1 src1_sel:WORD_1
	v_fmac_f16_e32 v21, 0xbbdd, v23
	v_sub_f16_e32 v23, v11, v18
	v_fmamk_f16 v28, v16, 0x3b76, v27
	v_fma_f16 v27, v16, 0x3b76, -v27
	v_fmamk_f16 v31, v16, 0x39e9, v29
	v_fma_f16 v29, v16, 0x39e9, -v29
	;; [unrolled: 2-line block ×7, first 2 shown]
	v_fmamk_f16 v53, v16, 0xbbdd, v25
	v_add_f16_e32 v55, v18, v11
	v_mul_f16_e32 v56, 0xb964, v54
	v_fma_f16 v16, v16, 0xbbdd, -v25
	v_add_f16_sdwa v18, v18, v11 dst_sel:DWORD dst_unused:UNUSED_PAD src0_sel:WORD_1 src1_sel:WORD_1
	v_mul_f16_e32 v25, 0xb964, v23
	v_add_f16_sdwa v28, v28, v15 dst_sel:DWORD dst_unused:UNUSED_PAD src0_sel:DWORD src1_sel:WORD_1
	v_add_f16_e32 v24, v24, v15
	v_add_f16_sdwa v27, v27, v15 dst_sel:DWORD dst_unused:UNUSED_PAD src0_sel:DWORD src1_sel:WORD_1
	v_add_f16_e32 v30, v30, v15
	;; [unrolled: 2-line block ×14, first 2 shown]
	v_add_f16_sdwa v53, v53, v15 dst_sel:DWORD dst_unused:UNUSED_PAD src0_sel:DWORD src1_sel:WORD_1
	v_fma_f16 v57, v55, 0x39e9, -v56
	v_add_f16_e32 v21, v21, v15
	v_add_f16_sdwa v58, v16, v15 dst_sel:DWORD dst_unused:UNUSED_PAD src0_sel:DWORD src1_sel:WORD_1
	v_fmamk_f16 v15, v18, 0x39e9, v25
	v_mul_f16_e32 v16, 0xbbf7, v54
	v_or_b32_sdwa v11, v19, v20 dst_sel:DWORD dst_unused:UNUSED_PAD src0_sel:DWORD src1_sel:WORD_0
	v_add_f16_e32 v19, v57, v22
	v_fma_f16 v20, v18, 0x39e9, -v25
	v_mul_f16_e32 v22, 0xbbf7, v23
	v_add_f16_e32 v25, v15, v28
	v_fma_f16 v15, v55, 0x2de8, -v16
	v_fmac_f16_e32 v56, 0x39e9, v55
	v_add_f16_e32 v20, v20, v27
	v_fmamk_f16 v27, v18, 0x2de8, v22
	v_mul_f16_e32 v28, 0xba62, v54
	v_add_f16_e32 v30, v15, v30
	v_mul_f16_e32 v15, 0xba62, v23
	v_fmac_f16_e32 v16, 0x2de8, v55
	v_add_f16_e32 v24, v56, v24
	v_fma_f16 v22, v18, 0x2de8, -v22
	v_fma_f16 v56, v55, 0xb8d2, -v28
	v_add_f16_e32 v27, v27, v31
	v_fmamk_f16 v31, v18, 0xb8d2, v15
	v_add_f16_e32 v26, v16, v26
	v_mul_f16_e32 v16, 0xb1e1, v54
	v_add_f16_e32 v22, v22, v29
	v_add_f16_e32 v29, v56, v34
	;; [unrolled: 1-line block ×3, first 2 shown]
	v_fmac_f16_e32 v28, 0xb8d2, v55
	v_fma_f16 v15, v18, 0xb8d2, -v15
	v_mul_f16_e32 v34, 0xb1e1, v23
	v_fma_f16 v36, v55, 0xbbdd, -v16
	v_fmac_f16_e32 v16, 0xbbdd, v55
	v_add_f16_e32 v28, v28, v32
	v_add_f16_e32 v32, v15, v33
	v_fmamk_f16 v15, v18, 0xbbdd, v34
	v_add_f16_e32 v33, v36, v37
	v_mul_f16_e32 v36, 0x3836, v54
	v_mul_f16_e32 v37, 0x3836, v23
	v_add_f16_e32 v35, v16, v35
	v_add_f16_e32 v40, v15, v40
	v_fma_f16 v15, v18, 0xbbdd, -v34
	v_fma_f16 v34, v55, 0xbacd, -v36
	v_fmamk_f16 v16, v18, 0xbacd, v37
	v_fmac_f16_e32 v36, 0xbacd, v55
	v_add_f16_e32 v38, v15, v38
	v_add_f16_e32 v34, v34, v42
	v_mul_f16_e32 v15, 0x3bb2, v54
	v_add_f16_e32 v42, v16, v43
	v_fma_f16 v16, v18, 0xbacd, -v37
	v_mul_f16_e32 v37, 0x3bb2, v23
	v_add_f16_e32 v36, v36, v39
	v_fma_f16 v43, v55, 0xb461, -v15
	v_fmac_f16_e32 v15, 0xb461, v55
	v_add_f16_e32 v39, v16, v41
	v_fmamk_f16 v16, v18, 0xb461, v37
	v_fma_f16 v37, v18, 0xb461, -v37
	v_add_f16_e32 v41, v43, v46
	v_mul_f16_e32 v43, 0x3b29, v54
	v_add_f16_e32 v44, v15, v44
	v_add_f16_e32 v46, v16, v48
	v_mul_f16_e32 v16, 0x3b29, v23
	v_add_f16_e32 v37, v37, v45
	v_fma_f16 v48, v55, 0x3722, -v43
	v_mul_f16_e32 v45, 0x35c8, v54
	v_fmac_f16_e32 v43, 0x3722, v55
	v_fmamk_f16 v15, v18, 0x3722, v16
	v_fma_f16 v16, v18, 0x3722, -v16
	v_add_f16_e32 v48, v48, v49
	v_fma_f16 v49, v55, 0x3b76, -v45
	v_mul_f16_e32 v23, 0x35c8, v23
	v_add_f16_e32 v43, v43, v47
	v_add_f16_e32 v16, v16, v50
	v_sub_f16_sdwa v47, v12, v17 dst_sel:DWORD dst_unused:UNUSED_PAD src0_sel:WORD_1 src1_sel:WORD_1
	v_sub_f16_e32 v50, v12, v17
	v_add_f16_e32 v51, v15, v51
	v_add_f16_e32 v15, v49, v52
	v_fmamk_f16 v49, v18, 0x3b76, v23
	v_fmac_f16_e32 v45, 0x3b76, v55
	v_add_f16_e32 v52, v17, v12
	v_mul_f16_e32 v54, 0xbb29, v47
	v_add_f16_sdwa v12, v17, v12 dst_sel:DWORD dst_unused:UNUSED_PAD src0_sel:WORD_1 src1_sel:WORD_1
	v_mul_f16_e32 v17, 0xbb29, v50
	v_fma_f16 v18, v18, 0x3b76, -v23
	v_add_f16_e32 v23, v49, v53
	v_fma_f16 v49, v52, 0x3722, -v54
	v_add_f16_e32 v21, v45, v21
	v_fmamk_f16 v45, v12, 0x3722, v17
	v_mul_f16_e32 v53, 0xba62, v47
	v_fma_f16 v17, v12, 0x3722, -v17
	v_add_f16_e32 v19, v49, v19
	v_fmac_f16_e32 v54, 0x3722, v52
	v_add_f16_e32 v25, v45, v25
	v_fma_f16 v45, v52, 0xb8d2, -v53
	v_mul_f16_e32 v49, 0xba62, v50
	v_add_f16_e32 v17, v17, v20
	v_mul_f16_e32 v20, 0x31e1, v47
	v_add_f16_e32 v24, v54, v24
	v_add_f16_e32 v30, v45, v30
	v_fmamk_f16 v45, v12, 0xb8d2, v49
	v_fmac_f16_e32 v53, 0xb8d2, v52
	v_fma_f16 v49, v12, 0xb8d2, -v49
	v_fma_f16 v54, v52, 0xbbdd, -v20
	v_mul_f16_e32 v55, 0x31e1, v50
	v_add_f16_e32 v27, v45, v27
	v_add_f16_e32 v26, v53, v26
	;; [unrolled: 1-line block ×4, first 2 shown]
	v_fmamk_f16 v45, v12, 0xbbdd, v55
	v_mul_f16_e32 v49, 0x3bb2, v47
	v_fmac_f16_e32 v20, 0xbbdd, v52
	v_fma_f16 v53, v12, 0xbbdd, -v55
	v_mul_f16_e32 v54, 0x3bb2, v50
	v_add_f16_e32 v31, v45, v31
	v_fma_f16 v45, v52, 0xb461, -v49
	v_add_f16_e32 v20, v20, v28
	v_add_f16_e32 v28, v53, v32
	v_fmamk_f16 v32, v12, 0xb461, v54
	v_mul_f16_e32 v53, 0x3964, v47
	v_add_f16_e32 v33, v45, v33
	v_fmac_f16_e32 v49, 0xb461, v52
	v_fma_f16 v45, v12, 0xb461, -v54
	v_add_f16_e32 v32, v32, v40
	v_fma_f16 v40, v52, 0x39e9, -v53
	v_mul_f16_e32 v54, 0x3964, v50
	v_add_f16_e32 v35, v49, v35
	v_add_f16_e32 v38, v45, v38
	v_mul_f16_e32 v45, 0xb5c8, v47
	v_add_f16_e32 v34, v40, v34
	v_fmamk_f16 v40, v12, 0x39e9, v54
	v_fmac_f16_e32 v53, 0x39e9, v52
	v_fma_f16 v49, v12, 0x39e9, -v54
	v_mul_f16_e32 v55, 0xb5c8, v50
	v_fma_f16 v54, v52, 0x3b76, -v45
	v_add_f16_e32 v40, v40, v42
	v_add_f16_e32 v36, v53, v36
	;; [unrolled: 1-line block ×3, first 2 shown]
	v_fmamk_f16 v42, v12, 0x3b76, v55
	v_mul_f16_e32 v49, 0xbbf7, v47
	v_fmac_f16_e32 v45, 0x3b76, v52
	v_mul_f16_e32 v53, 0xbbf7, v50
	v_mul_f16_e32 v47, 0xb836, v47
	v_add_f16_e32 v42, v42, v46
	v_fma_f16 v46, v52, 0x2de8, -v49
	v_add_f16_e32 v44, v45, v44
	v_fmamk_f16 v45, v12, 0x2de8, v53
	v_fmac_f16_e32 v49, 0x2de8, v52
	v_add_f16_e32 v41, v54, v41
	v_fma_f16 v54, v12, 0x3b76, -v55
	v_add_f16_e32 v46, v46, v48
	v_add_f16_e32 v45, v45, v51
	v_fma_f16 v51, v52, 0xbacd, -v47
	v_add_f16_e32 v43, v49, v43
	v_sub_f16_sdwa v49, v7, v10 dst_sel:DWORD dst_unused:UNUSED_PAD src0_sel:WORD_1 src1_sel:WORD_1
	v_add_f16_e32 v37, v54, v37
	v_fma_f16 v48, v12, 0x2de8, -v53
	v_mul_f16_e32 v50, 0xb836, v50
	v_add_f16_e32 v15, v51, v15
	v_add_f16_e32 v51, v10, v7
	v_mul_f16_e32 v53, 0xbbf7, v49
	v_sub_f16_e32 v54, v7, v10
	v_add_f16_e32 v18, v18, v58
	v_add_f16_e32 v16, v48, v16
	v_fmamk_f16 v48, v12, 0xbacd, v50
	v_fmac_f16_e32 v47, 0xbacd, v52
	v_fma_f16 v12, v12, 0xbacd, -v50
	v_add_f16_sdwa v7, v10, v7 dst_sel:DWORD dst_unused:UNUSED_PAD src0_sel:WORD_1 src1_sel:WORD_1
	v_fma_f16 v10, v51, 0x2de8, -v53
	v_mul_f16_e32 v50, 0xbbf7, v54
	v_add_f16_e32 v23, v48, v23
	v_add_f16_e32 v21, v47, v21
	;; [unrolled: 1-line block ×4, first 2 shown]
	v_fmamk_f16 v18, v7, 0x2de8, v50
	v_mul_f16_e32 v19, 0xb1e1, v49
	v_fma_f16 v47, v7, 0x2de8, -v50
	v_mul_f16_e32 v48, 0xb1e1, v54
	v_mul_f16_e32 v50, 0x3bb2, v49
	v_add_f16_e32 v18, v18, v25
	v_fma_f16 v25, v51, 0xbbdd, -v19
	v_add_f16_e32 v17, v47, v17
	v_fmamk_f16 v47, v7, 0xbbdd, v48
	v_fmac_f16_e32 v19, 0xbbdd, v51
	v_mul_f16_e32 v52, 0x35c8, v54
	v_add_f16_e32 v25, v25, v30
	v_fma_f16 v30, v7, 0xbbdd, -v48
	v_add_f16_e32 v27, v47, v27
	v_fma_f16 v47, v51, 0xb461, -v50
	v_mul_f16_e32 v48, 0x3bb2, v54
	v_add_f16_e32 v19, v19, v26
	v_mul_f16_e32 v26, 0x35c8, v49
	v_add_f16_e32 v22, v30, v22
	v_add_f16_e32 v29, v47, v29
	v_fmamk_f16 v30, v7, 0xb461, v48
	v_fma_f16 v47, v7, 0xb461, -v48
	v_fma_f16 v48, v51, 0x3b76, -v26
	v_fmac_f16_e32 v50, 0xb461, v51
	v_fmac_f16_e32 v26, 0x3b76, v51
	v_add_f16_e32 v30, v30, v31
	v_add_f16_e32 v28, v47, v28
	v_add_f16_e32 v31, v48, v33
	v_fmamk_f16 v33, v7, 0x3b76, v52
	v_mul_f16_e32 v47, 0xbb29, v49
	v_add_f16_e32 v20, v50, v20
	v_fma_f16 v48, v7, 0x3b76, -v52
	v_mul_f16_e32 v50, 0xbb29, v54
	v_add_f16_e32 v32, v33, v32
	v_fma_f16 v33, v51, 0x3722, -v47
	v_add_f16_e32 v26, v26, v35
	v_add_f16_e32 v35, v48, v38
	v_fmamk_f16 v38, v7, 0x3722, v50
	v_mul_f16_e32 v48, 0xb836, v49
	v_add_f16_e32 v33, v33, v34
	v_fma_f16 v34, v7, 0x3722, -v50
	v_fmac_f16_e32 v47, 0x3722, v51
	v_add_f16_e32 v38, v38, v40
	v_fma_f16 v40, v51, 0xbacd, -v48
	v_mul_f16_e32 v50, 0xb836, v54
	v_add_f16_e32 v34, v34, v39
	v_mul_f16_e32 v39, 0x3a62, v49
	v_add_f16_e32 v36, v47, v36
	v_add_f16_e32 v40, v40, v41
	v_fmamk_f16 v41, v7, 0xbacd, v50
	v_fmac_f16_e32 v48, 0xbacd, v51
	v_fma_f16 v47, v7, 0xbacd, -v50
	v_fma_f16 v50, v51, 0xb8d2, -v39
	v_mul_f16_e32 v52, 0x3a62, v54
	v_add_f16_e32 v41, v41, v42
	v_add_f16_e32 v42, v48, v44
	;; [unrolled: 1-line block ×4, first 2 shown]
	v_fmamk_f16 v46, v7, 0xb8d2, v52
	v_mul_f16_e32 v47, 0x3964, v49
	v_mul_f16_e32 v48, 0x3964, v54
	v_fmac_f16_e32 v39, 0xb8d2, v51
	v_fma_f16 v49, v7, 0xb8d2, -v52
	v_add_f16_e32 v45, v46, v45
	v_fma_f16 v46, v51, 0x39e9, -v47
	v_fmamk_f16 v50, v7, 0x39e9, v48
	v_add_f16_e32 v39, v39, v43
	v_add_f16_e32 v16, v49, v16
	v_sub_f16_sdwa v43, v8, v9 dst_sel:DWORD dst_unused:UNUSED_PAD src0_sel:WORD_1 src1_sel:WORD_1
	v_sub_f16_e32 v49, v8, v9
	v_add_f16_e32 v15, v46, v15
	v_add_f16_e32 v23, v50, v23
	;; [unrolled: 1-line block ×3, first 2 shown]
	v_mul_f16_e32 v50, 0xbbb2, v43
	v_fmac_f16_e32 v47, 0x39e9, v51
	v_fma_f16 v7, v7, 0x39e9, -v48
	v_add_f16_sdwa v8, v9, v8 dst_sel:DWORD dst_unused:UNUSED_PAD src0_sel:WORD_1 src1_sel:WORD_1
	v_mul_f16_e32 v9, 0xbbb2, v49
	v_fmac_f16_e32 v53, 0x2de8, v51
	v_fma_f16 v48, v46, 0xb461, -v50
	v_add_f16_e32 v21, v47, v21
	v_add_f16_e32 v7, v7, v12
	v_mul_f16_e32 v12, 0x3836, v43
	v_fmamk_f16 v47, v8, 0xb461, v9
	v_add_f16_e32 v24, v53, v24
	v_add_f16_e32 v10, v48, v10
	v_fmac_f16_e32 v50, 0xb461, v46
	v_fma_f16 v9, v8, 0xb461, -v9
	v_fma_f16 v48, v46, 0xbacd, -v12
	v_add_f16_e32 v18, v47, v18
	v_mul_f16_e32 v47, 0x3836, v49
	v_add_f16_e32 v24, v50, v24
	v_add_f16_e32 v9, v9, v17
	v_add_f16_e32 v17, v48, v25
	v_mul_f16_e32 v25, 0x3964, v43
	v_fmamk_f16 v48, v8, 0xbacd, v47
	v_fmac_f16_e32 v12, 0xbacd, v46
	v_fma_f16 v47, v8, 0xbacd, -v47
	v_mul_f16_e32 v50, 0x3964, v49
	v_fma_f16 v51, v46, 0x39e9, -v25
	v_add_f16_e32 v27, v48, v27
	v_add_f16_e32 v12, v12, v19
	v_add_f16_e32 v19, v47, v22
	v_mul_f16_e32 v47, 0xbb29, v43
	v_fmac_f16_e32 v25, 0x39e9, v46
	v_fma_f16 v48, v8, 0x39e9, -v50
	v_fmamk_f16 v22, v8, 0x39e9, v50
	v_add_f16_e32 v29, v51, v29
	v_fma_f16 v50, v46, 0x3722, -v47
	v_add_f16_e32 v20, v25, v20
	v_add_f16_e32 v25, v48, v28
	v_mul_f16_e32 v28, 0xb1e1, v43
	v_add_f16_e32 v22, v22, v30
	v_mul_f16_e32 v30, 0xbb29, v49
	v_add_f16_e32 v31, v50, v31
	v_fmac_f16_e32 v47, 0x3722, v46
	v_fma_f16 v50, v46, 0xbbdd, -v28
	v_fmac_f16_e32 v28, 0xbbdd, v46
	v_fmamk_f16 v48, v8, 0x3722, v30
	v_fma_f16 v30, v8, 0x3722, -v30
	v_add_f16_e32 v26, v47, v26
	v_add_f16_e32 v33, v50, v33
	v_mul_f16_e32 v50, 0x3bf7, v49
	v_add_f16_e32 v32, v48, v32
	v_mul_f16_e32 v48, 0xb1e1, v49
	;; [unrolled: 2-line block ×3, first 2 shown]
	v_add_f16_e32 v28, v28, v36
	v_fmamk_f16 v36, v8, 0x2de8, v50
	v_fmamk_f16 v47, v8, 0xbbdd, v48
	v_fma_f16 v48, v8, 0xbbdd, -v48
	v_fma_f16 v51, v46, 0x2de8, -v35
	v_fmac_f16_e32 v35, 0x2de8, v46
	v_add_f16_e32 v36, v36, v41
	v_mul_f16_e32 v41, 0xb5c8, v49
	v_add_f16_e32 v38, v47, v38
	v_add_f16_e32 v34, v48, v34
	v_mul_f16_e32 v47, 0xb5c8, v43
	v_fma_f16 v48, v8, 0x2de8, -v50
	v_add_f16_e32 v35, v35, v42
	v_mul_f16_e32 v42, 0xba62, v43
	v_fmamk_f16 v43, v8, 0x3b76, v41
	v_fma_f16 v41, v8, 0x3b76, -v41
	v_fma_f16 v50, v46, 0x3b76, -v47
	v_add_f16_e32 v37, v48, v37
	v_fmac_f16_e32 v47, 0x3b76, v46
	v_fma_f16 v48, v46, 0xb8d2, -v42
	v_add_f16_e32 v43, v43, v45
	v_mul_f16_e32 v45, 0xba62, v49
	v_add_f16_e32 v16, v41, v16
	v_sub_f16_sdwa v41, v3, v6 dst_sel:DWORD dst_unused:UNUSED_PAD src0_sel:WORD_1 src1_sel:WORD_1
	v_fmac_f16_e32 v42, 0xb8d2, v46
	v_sub_f16_e32 v46, v3, v6
	v_add_f16_e32 v39, v47, v39
	v_add_f16_e32 v15, v48, v15
	v_fmamk_f16 v47, v8, 0xb8d2, v45
	v_add_f16_e32 v48, v6, v3
	v_mul_f16_e32 v49, 0xba62, v41
	v_fma_f16 v8, v8, 0xb8d2, -v45
	v_add_f16_sdwa v3, v6, v3 dst_sel:DWORD dst_unused:UNUSED_PAD src0_sel:WORD_1 src1_sel:WORD_1
	v_mul_f16_e32 v6, 0xba62, v46
	v_add_f16_e32 v21, v42, v21
	v_fma_f16 v45, v48, 0xb8d2, -v49
	v_add_f16_e32 v7, v8, v7
	v_mul_f16_e32 v42, 0x3bb2, v41
	v_fmamk_f16 v8, v3, 0xb8d2, v6
	v_fma_f16 v6, v3, 0xb8d2, -v6
	v_add_f16_e32 v10, v45, v10
	v_fmac_f16_e32 v49, 0xb8d2, v48
	v_mul_f16_e32 v45, 0x3bb2, v46
	v_add_f16_e32 v8, v8, v18
	v_fma_f16 v18, v48, 0xb461, -v42
	v_add_f16_e32 v6, v6, v9
	v_mul_f16_e32 v9, 0xb5c8, v41
	v_add_f16_e32 v23, v47, v23
	v_add_f16_e32 v24, v49, v24
	;; [unrolled: 1-line block ×3, first 2 shown]
	v_fmamk_f16 v18, v3, 0xb461, v45
	v_fmac_f16_e32 v42, 0xb461, v48
	v_fma_f16 v47, v48, 0x3b76, -v9
	v_mul_f16_e32 v49, 0xb5c8, v46
	v_fma_f16 v45, v3, 0xb461, -v45
	v_add_f16_e32 v18, v18, v27
	v_add_f16_e32 v12, v42, v12
	;; [unrolled: 1-line block ×3, first 2 shown]
	v_fmamk_f16 v29, v3, 0x3b76, v49
	v_mul_f16_e32 v42, 0xb836, v41
	v_add_f16_e32 v19, v45, v19
	v_fmac_f16_e32 v9, 0x3b76, v48
	v_fma_f16 v45, v3, 0x3b76, -v49
	v_mul_f16_e32 v47, 0xb836, v46
	v_add_f16_e32 v22, v29, v22
	v_fma_f16 v29, v48, 0xbacd, -v42
	v_add_f16_e32 v9, v9, v20
	v_add_f16_e32 v20, v45, v25
	v_fmamk_f16 v25, v3, 0xbacd, v47
	v_mul_f16_e32 v45, 0x3bf7, v41
	v_add_f16_e32 v29, v29, v31
	v_fma_f16 v31, v3, 0xbacd, -v47
	v_fmac_f16_e32 v42, 0xbacd, v48
	v_add_f16_e32 v25, v25, v32
	v_fma_f16 v32, v48, 0x2de8, -v45
	v_mul_f16_e32 v47, 0x3bf7, v46
	v_add_f16_e32 v30, v31, v30
	v_mul_f16_e32 v31, 0xb964, v41
	v_add_f16_e32 v40, v51, v40
	v_add_f16_e32 v26, v42, v26
	;; [unrolled: 1-line block ×3, first 2 shown]
	v_fmamk_f16 v33, v3, 0x2de8, v47
	v_fmac_f16_e32 v45, 0x2de8, v48
	v_fma_f16 v42, v3, 0x2de8, -v47
	v_fma_f16 v47, v48, 0x39e9, -v31
	v_mul_f16_e32 v49, 0xb964, v46
	v_add_f16_e32 v33, v33, v38
	v_add_f16_e32 v28, v45, v28
	;; [unrolled: 1-line block ×4, first 2 shown]
	v_fmamk_f16 v40, v3, 0x39e9, v49
	v_mul_f16_e32 v42, 0xb1e1, v41
	v_fmac_f16_e32 v31, 0x39e9, v48
	v_fma_f16 v45, v3, 0x39e9, -v49
	v_mul_f16_e32 v47, 0xb1e1, v46
	v_add_f16_e32 v44, v50, v44
	v_add_f16_e32 v36, v40, v36
	v_fma_f16 v40, v48, 0xbbdd, -v42
	v_add_f16_e32 v31, v31, v35
	v_add_f16_e32 v35, v45, v37
	v_fmamk_f16 v37, v3, 0xbbdd, v47
	v_mul_f16_e32 v41, 0x3b29, v41
	v_add_f16_e32 v40, v40, v44
	v_fmac_f16_e32 v42, 0xbbdd, v48
	v_fma_f16 v44, v3, 0xbbdd, -v47
	v_add_f16_e32 v37, v37, v43
	v_fma_f16 v43, v48, 0x3722, -v41
	v_mul_f16_e32 v45, 0x3b29, v46
	v_sub_f16_e32 v46, v4, v5
	v_add_f16_e32 v39, v42, v39
	v_add_f16_e32 v16, v44, v16
	v_sub_f16_sdwa v42, v4, v5 dst_sel:DWORD dst_unused:UNUSED_PAD src0_sel:WORD_1 src1_sel:WORD_1
	v_add_f16_e32 v15, v43, v15
	v_fmamk_f16 v43, v3, 0x3722, v45
	v_add_f16_e32 v44, v5, v4
	v_fma_f16 v3, v3, 0x3722, -v45
	v_add_f16_sdwa v4, v5, v4 dst_sel:DWORD dst_unused:UNUSED_PAD src0_sel:WORD_1 src1_sel:WORD_1
	v_mul_f16_e32 v5, 0xb836, v46
	v_mul_f16_e32 v47, 0xb836, v42
	v_fmac_f16_e32 v41, 0x3722, v48
	v_add_f16_e32 v3, v3, v7
	v_add_f16_e32 v23, v43, v23
	v_fmamk_f16 v7, v4, 0xbacd, v5
	v_fma_f16 v45, v44, 0xbacd, -v47
	v_add_f16_e32 v21, v41, v21
	v_mul_f16_e32 v41, 0x3b29, v42
	v_fma_f16 v5, v4, 0xbacd, -v5
	v_add_f16_e32 v7, v7, v8
	v_mul_f16_e32 v8, 0x3b29, v46
	v_add_f16_e32 v10, v45, v10
	v_fma_f16 v43, v44, 0x3722, -v41
	v_add_f16_e32 v5, v5, v6
	v_mul_f16_e32 v6, 0xbbf7, v42
	v_fmamk_f16 v45, v4, 0x3722, v8
	v_fmac_f16_e32 v41, 0x3722, v44
	v_add_f16_e32 v17, v43, v17
	v_fma_f16 v8, v4, 0x3722, -v8
	v_fma_f16 v43, v44, 0x2de8, -v6
	v_add_f16_e32 v18, v45, v18
	v_mul_f16_e32 v45, 0xbbf7, v46
	v_add_f16_e32 v12, v41, v12
	v_add_f16_e32 v8, v8, v19
	;; [unrolled: 1-line block ×3, first 2 shown]
	v_fmac_f16_e32 v6, 0x2de8, v44
	v_fmamk_f16 v41, v4, 0x2de8, v45
	v_fma_f16 v43, v4, 0x2de8, -v45
	v_mul_f16_e32 v45, 0x3a62, v46
	v_fmac_f16_e32 v47, 0xbacd, v44
	v_mul_f16_e32 v27, 0x3a62, v42
	v_add_f16_e32 v6, v6, v9
	v_add_f16_e32 v9, v43, v20
	v_fmamk_f16 v20, v4, 0xb8d2, v45
	v_add_f16_e32 v24, v47, v24
	v_fma_f16 v47, v44, 0xb8d2, -v27
	v_add_f16_e32 v22, v41, v22
	v_mul_f16_e32 v41, 0xb5c8, v42
	v_fmac_f16_e32 v27, 0xb8d2, v44
	v_fma_f16 v43, v4, 0xb8d2, -v45
	v_add_f16_e32 v20, v20, v25
	v_mul_f16_e32 v25, 0xb5c8, v46
	v_fma_f16 v45, v44, 0x3b76, -v41
	v_add_f16_e32 v26, v27, v26
	v_add_f16_e32 v27, v43, v30
	v_mul_f16_e32 v30, 0xb1e1, v42
	v_fmamk_f16 v43, v4, 0x3b76, v25
	v_add_f16_e32 v32, v45, v32
	v_fmac_f16_e32 v41, 0x3b76, v44
	v_fma_f16 v25, v4, 0x3b76, -v25
	v_fma_f16 v45, v44, 0xbbdd, -v30
	v_add_f16_e32 v33, v43, v33
	v_mul_f16_e32 v43, 0xb1e1, v46
	v_add_f16_e32 v28, v41, v28
	v_add_f16_e32 v25, v25, v34
	;; [unrolled: 1-line block ×3, first 2 shown]
	v_mul_f16_e32 v38, 0x3964, v42
	v_fmamk_f16 v41, v4, 0xbbdd, v43
	v_fmac_f16_e32 v30, 0xbbdd, v44
	v_fma_f16 v43, v4, 0xbbdd, -v43
	v_mul_f16_e32 v45, 0x3964, v46
	v_add_f16_e32 v29, v47, v29
	v_fma_f16 v47, v44, 0x39e9, -v38
	v_add_f16_e32 v36, v41, v36
	v_add_f16_e32 v30, v30, v31
	;; [unrolled: 1-line block ×3, first 2 shown]
	v_fmamk_f16 v35, v4, 0x39e9, v45
	v_mul_f16_e32 v41, 0xbbb2, v42
	v_mul_f16_e32 v42, 0xbbb2, v46
	v_fmac_f16_e32 v38, 0x39e9, v44
	v_add_f16_e32 v40, v47, v40
	v_add_f16_e32 v35, v35, v37
	v_fma_f16 v37, v4, 0x39e9, -v45
	v_fma_f16 v43, v44, 0xb461, -v41
	v_fmamk_f16 v45, v4, 0xb461, v42
	v_add_f16_e32 v38, v38, v39
	v_sub_f16_sdwa v39, v0, v1 dst_sel:DWORD dst_unused:UNUSED_PAD src0_sel:WORD_1 src1_sel:WORD_1
	v_add_f16_e32 v16, v37, v16
	v_add_f16_e32 v15, v43, v15
	;; [unrolled: 1-line block ×4, first 2 shown]
	v_mul_f16_e32 v43, 0xb1e1, v39
	v_sub_f16_e32 v45, v0, v1
	v_fmac_f16_e32 v41, 0xb461, v44
	v_fma_f16 v4, v4, 0xb461, -v42
	v_add_f16_sdwa v42, v1, v0 dst_sel:DWORD dst_unused:UNUSED_PAD src0_sel:WORD_1 src1_sel:WORD_1
	v_fma_f16 v0, v37, 0xbbdd, -v43
	v_mul_f16_e32 v1, 0xb1e1, v45
	v_add_f16_e32 v21, v41, v21
	v_add_f16_e32 v41, v4, v3
	v_mul_f16_e32 v3, 0x35c8, v39
	v_add_f16_e32 v10, v0, v10
	v_fmamk_f16 v0, v42, 0xbbdd, v1
	v_fmac_f16_e32 v43, 0xbbdd, v37
	v_fma_f16 v1, v42, 0xbbdd, -v1
	v_mul_f16_e32 v44, 0x35c8, v45
	v_fma_f16 v4, v37, 0x3b76, -v3
	v_add_f16_e32 v46, v0, v7
	v_add_f16_e32 v24, v43, v24
	v_add_f16_e32 v43, v1, v5
	v_fmamk_f16 v0, v42, 0x3b76, v44
	v_mul_f16_e32 v1, 0xb836, v39
	v_add_f16_e32 v17, v4, v17
	v_fmac_f16_e32 v3, 0x3b76, v37
	v_fma_f16 v4, v42, 0x3b76, -v44
	v_mul_f16_e32 v5, 0xb836, v45
	v_add_f16_e32 v18, v0, v18
	v_fma_f16 v0, v37, 0xbacd, -v1
	v_add_f16_e32 v44, v3, v12
	v_add_f16_e32 v47, v4, v8
	v_fmamk_f16 v3, v42, 0xbacd, v5
	v_mul_f16_e32 v4, 0x3964, v39
	v_add_f16_e32 v12, v0, v19
	v_fma_f16 v0, v42, 0xbacd, -v5
	v_fmac_f16_e32 v1, 0xbacd, v37
	v_add_f16_e32 v19, v3, v22
	v_fma_f16 v3, v37, 0x39e9, -v4
	v_mul_f16_e32 v5, 0x3964, v45
	v_add_f16_e32 v48, v0, v9
	v_mul_f16_e32 v0, 0xba62, v39
	v_add_f16_e32 v22, v1, v6
	v_add_f16_e32 v29, v3, v29
	v_fmamk_f16 v1, v42, 0x39e9, v5
	v_fma_f16 v3, v42, 0x39e9, -v5
	v_mul_f16_e32 v6, 0xba62, v45
	v_fma_f16 v5, v37, 0xb8d2, -v0
	v_fmac_f16_e32 v4, 0x39e9, v37
	v_add_f16_e32 v20, v1, v20
	v_add_f16_e32 v27, v3, v27
	v_fmamk_f16 v1, v42, 0xb8d2, v6
	v_mul_f16_e32 v3, 0x3b29, v39
	v_add_f16_e32 v32, v5, v32
	v_fmac_f16_e32 v0, 0xb8d2, v37
	v_mul_f16_e32 v5, 0x3b29, v45
	v_add_f16_e32 v26, v4, v26
	v_fma_f16 v4, v42, 0xb8d2, -v6
	v_add_f16_e32 v33, v1, v33
	v_fma_f16 v1, v37, 0x3722, -v3
	v_fmac_f16_e32 v3, 0x3722, v37
	v_add_f16_e32 v28, v0, v28
	v_fmamk_f16 v0, v42, 0x3722, v5
	v_add_f16_e32 v25, v4, v25
	v_add_f16_e32 v34, v1, v34
	;; [unrolled: 1-line block ×3, first 2 shown]
	v_mad_u64_u32 v[3:4], null, s4, v14, 0
	v_mul_f16_e32 v1, 0xbbb2, v39
	v_add_f16_e32 v36, v0, v36
	v_fma_f16 v0, v42, 0x3722, -v5
	v_mul_f16_e32 v6, 0xbbb2, v45
	v_pack_b32_f16 v17, v17, v18
	v_fma_f16 v5, v37, 0xb461, -v1
	v_fmac_f16_e32 v1, 0xb461, v37
	v_add_f16_e32 v31, v0, v31
	v_mov_b32_e32 v0, v4
	v_fmamk_f16 v7, v42, 0xb461, v6
	v_add_f16_e32 v40, v5, v40
	v_fma_f16 v5, v42, 0xb461, -v6
	v_mul_f16_e32 v6, 0x3bf7, v39
	v_mul_f16_e32 v4, 0x3bf7, v45
	v_add_f16_e32 v38, v1, v38
	v_mad_u64_u32 v[0:1], null, s5, v14, v[0:1]
	v_add_f16_e32 v35, v7, v35
	v_add_f16_e32 v16, v5, v16
	v_fma_f16 v5, v37, 0x2de8, -v6
	v_fmamk_f16 v1, v42, 0x2de8, v4
	v_mul_u32_u24_e32 v7, 17, v13
	v_fmac_f16_e32 v6, 0x2de8, v37
	s_lshl_b64 s[4:5], s[8:9], 2
	v_add_f16_e32 v14, v5, v15
	v_fma_f16 v5, v42, 0x2de8, -v4
	v_add_f16_e32 v15, v1, v23
	v_mov_b32_e32 v4, v0
	v_mul_lo_u32 v1, v7, s6
	s_add_u32 s0, s4, s0
	v_add_f16_e32 v21, v6, v21
	v_add_f16_e32 v0, v5, v41
	v_lshlrev_b64 v[3:4], 2, v[3:4]
	s_addc_u32 s1, s5, s1
	s_add_u32 s0, s0, s2
	s_addc_u32 s1, s1, s3
	v_lshlrev_b64 v[5:6], 2, v[1:2]
	v_add_nc_u32_e32 v1, s6, v1
	v_add_co_u32 v23, vcc_lo, s0, v3
	v_add_co_ci_u32_e32 v37, vcc_lo, s1, v4, vcc_lo
	v_lshlrev_b64 v[3:4], 2, v[1:2]
	v_add_nc_u32_e32 v1, s6, v1
	v_add_co_u32 v5, vcc_lo, v23, v5
	v_add_co_ci_u32_e32 v6, vcc_lo, v37, v6, vcc_lo
	v_lshlrev_b64 v[7:8], 2, v[1:2]
	v_add_nc_u32_e32 v1, s6, v1
	v_add_co_u32 v3, vcc_lo, v23, v3
	v_pack_b32_f16 v39, v10, v46
	v_add_co_ci_u32_e32 v4, vcc_lo, v37, v4, vcc_lo
	v_lshlrev_b64 v[9:10], 2, v[1:2]
	v_add_nc_u32_e32 v1, s6, v1
	v_add_co_u32 v7, vcc_lo, v23, v7
	v_add_co_ci_u32_e32 v8, vcc_lo, v37, v8, vcc_lo
	v_pack_b32_f16 v18, v12, v19
	v_lshlrev_b64 v[12:13], 2, v[1:2]
	v_add_nc_u32_e32 v1, s6, v1
	v_add_co_u32 v9, vcc_lo, v23, v9
	v_add_co_ci_u32_e32 v10, vcc_lo, v37, v10, vcc_lo
	global_store_dword v[5:6], v11, off
	global_store_dword v[3:4], v39, off
	;; [unrolled: 1-line block ×4, first 2 shown]
	v_lshlrev_b64 v[3:4], 2, v[1:2]
	v_add_nc_u32_e32 v1, s6, v1
	v_add_co_u32 v5, vcc_lo, v23, v12
	v_add_co_ci_u32_e32 v6, vcc_lo, v37, v13, vcc_lo
	v_lshlrev_b64 v[7:8], 2, v[1:2]
	v_add_nc_u32_e32 v1, s6, v1
	v_add_co_u32 v3, vcc_lo, v23, v3
	v_add_co_ci_u32_e32 v4, vcc_lo, v37, v4, vcc_lo
	v_lshlrev_b64 v[9:10], 2, v[1:2]
	v_add_nc_u32_e32 v1, s6, v1
	v_add_co_u32 v7, vcc_lo, v23, v7
	v_pack_b32_f16 v13, v29, v20
	v_add_co_ci_u32_e32 v8, vcc_lo, v37, v8, vcc_lo
	v_lshlrev_b64 v[11:12], 2, v[1:2]
	v_add_nc_u32_e32 v1, s6, v1
	v_pack_b32_f16 v17, v32, v33
	v_add_co_u32 v9, vcc_lo, v23, v9
	v_pack_b32_f16 v18, v34, v36
	v_add_co_ci_u32_e32 v10, vcc_lo, v37, v10, vcc_lo
	v_pack_b32_f16 v19, v40, v35
	global_store_dword v[5:6], v13, off
	global_store_dword v[3:4], v17, off
	;; [unrolled: 1-line block ×4, first 2 shown]
	v_lshlrev_b64 v[3:4], 2, v[1:2]
	v_add_nc_u32_e32 v1, s6, v1
	v_add_co_u32 v5, vcc_lo, v23, v11
	v_add_co_ci_u32_e32 v6, vcc_lo, v37, v12, vcc_lo
	v_lshlrev_b64 v[7:8], 2, v[1:2]
	v_add_nc_u32_e32 v1, s6, v1
	v_add_co_u32 v3, vcc_lo, v23, v3
	v_add_co_ci_u32_e32 v4, vcc_lo, v37, v4, vcc_lo
	v_lshlrev_b64 v[9:10], 2, v[1:2]
	v_add_nc_u32_e32 v1, s6, v1
	v_add_co_u32 v7, vcc_lo, v23, v7
	v_pack_b32_f16 v13, v14, v15
	v_add_co_ci_u32_e32 v8, vcc_lo, v37, v8, vcc_lo
	v_lshlrev_b64 v[11:12], 2, v[1:2]
	v_add_nc_u32_e32 v1, s6, v1
	v_pack_b32_f16 v0, v21, v0
	v_add_co_u32 v9, vcc_lo, v23, v9
	v_pack_b32_f16 v14, v38, v16
	v_add_co_ci_u32_e32 v10, vcc_lo, v37, v10, vcc_lo
	v_pack_b32_f16 v15, v30, v31
	global_store_dword v[5:6], v13, off
	global_store_dword v[3:4], v0, off
	;; [unrolled: 1-line block ×4, first 2 shown]
	v_lshlrev_b64 v[3:4], 2, v[1:2]
	v_add_nc_u32_e32 v1, s6, v1
	v_add_co_u32 v5, vcc_lo, v23, v11
	v_add_co_ci_u32_e32 v6, vcc_lo, v37, v12, vcc_lo
	v_lshlrev_b64 v[7:8], 2, v[1:2]
	v_add_nc_u32_e32 v1, s6, v1
	v_add_co_u32 v3, vcc_lo, v23, v3
	v_add_co_ci_u32_e32 v4, vcc_lo, v37, v4, vcc_lo
	;; [unrolled: 4-line block ×3, first 2 shown]
	v_lshlrev_b64 v[0:1], 2, v[1:2]
	v_add_co_u32 v9, vcc_lo, v23, v9
	v_pack_b32_f16 v11, v28, v25
	v_pack_b32_f16 v12, v26, v27
	v_add_co_ci_u32_e32 v10, vcc_lo, v37, v10, vcc_lo
	v_pack_b32_f16 v13, v22, v48
	v_add_co_u32 v0, vcc_lo, v23, v0
	v_pack_b32_f16 v2, v44, v47
	v_add_co_ci_u32_e32 v1, vcc_lo, v37, v1, vcc_lo
	v_pack_b32_f16 v14, v24, v43
	global_store_dword v[5:6], v11, off
	global_store_dword v[3:4], v12, off
	;; [unrolled: 1-line block ×5, first 2 shown]
	s_endpgm
	.section	.rodata,"a",@progbits
	.p2align	6, 0x0
	.amdhsa_kernel fft_rtc_fwd_len17_factors_17_wgs_120_tpt_1_half_op_CI_CI_sbrc_xy_z_diag_dirReg
		.amdhsa_group_segment_fixed_size 0
		.amdhsa_private_segment_fixed_size 0
		.amdhsa_kernarg_size 104
		.amdhsa_user_sgpr_count 6
		.amdhsa_user_sgpr_private_segment_buffer 1
		.amdhsa_user_sgpr_dispatch_ptr 0
		.amdhsa_user_sgpr_queue_ptr 0
		.amdhsa_user_sgpr_kernarg_segment_ptr 1
		.amdhsa_user_sgpr_dispatch_id 0
		.amdhsa_user_sgpr_flat_scratch_init 0
		.amdhsa_user_sgpr_private_segment_size 0
		.amdhsa_wavefront_size32 1
		.amdhsa_uses_dynamic_stack 0
		.amdhsa_system_sgpr_private_segment_wavefront_offset 0
		.amdhsa_system_sgpr_workgroup_id_x 1
		.amdhsa_system_sgpr_workgroup_id_y 0
		.amdhsa_system_sgpr_workgroup_id_z 0
		.amdhsa_system_sgpr_workgroup_info 0
		.amdhsa_system_vgpr_workitem_id 0
		.amdhsa_next_free_vgpr 77
		.amdhsa_next_free_sgpr 22
		.amdhsa_reserve_vcc 1
		.amdhsa_reserve_flat_scratch 0
		.amdhsa_float_round_mode_32 0
		.amdhsa_float_round_mode_16_64 0
		.amdhsa_float_denorm_mode_32 3
		.amdhsa_float_denorm_mode_16_64 3
		.amdhsa_dx10_clamp 1
		.amdhsa_ieee_mode 1
		.amdhsa_fp16_overflow 0
		.amdhsa_workgroup_processor_mode 1
		.amdhsa_memory_ordered 1
		.amdhsa_forward_progress 0
		.amdhsa_shared_vgpr_count 0
		.amdhsa_exception_fp_ieee_invalid_op 0
		.amdhsa_exception_fp_denorm_src 0
		.amdhsa_exception_fp_ieee_div_zero 0
		.amdhsa_exception_fp_ieee_overflow 0
		.amdhsa_exception_fp_ieee_underflow 0
		.amdhsa_exception_fp_ieee_inexact 0
		.amdhsa_exception_int_div_zero 0
	.end_amdhsa_kernel
	.text
.Lfunc_end0:
	.size	fft_rtc_fwd_len17_factors_17_wgs_120_tpt_1_half_op_CI_CI_sbrc_xy_z_diag_dirReg, .Lfunc_end0-fft_rtc_fwd_len17_factors_17_wgs_120_tpt_1_half_op_CI_CI_sbrc_xy_z_diag_dirReg
                                        ; -- End function
	.section	.AMDGPU.csdata,"",@progbits
; Kernel info:
; codeLenInByte = 9224
; NumSgprs: 24
; NumVgprs: 77
; ScratchSize: 0
; MemoryBound: 0
; FloatMode: 240
; IeeeMode: 1
; LDSByteSize: 0 bytes/workgroup (compile time only)
; SGPRBlocks: 2
; VGPRBlocks: 9
; NumSGPRsForWavesPerEU: 24
; NumVGPRsForWavesPerEU: 77
; Occupancy: 12
; WaveLimiterHint : 1
; COMPUTE_PGM_RSRC2:SCRATCH_EN: 0
; COMPUTE_PGM_RSRC2:USER_SGPR: 6
; COMPUTE_PGM_RSRC2:TRAP_HANDLER: 0
; COMPUTE_PGM_RSRC2:TGID_X_EN: 1
; COMPUTE_PGM_RSRC2:TGID_Y_EN: 0
; COMPUTE_PGM_RSRC2:TGID_Z_EN: 0
; COMPUTE_PGM_RSRC2:TIDIG_COMP_CNT: 0
	.text
	.p2alignl 6, 3214868480
	.fill 48, 4, 3214868480
	.type	__hip_cuid_19f36ae9495c41c4,@object ; @__hip_cuid_19f36ae9495c41c4
	.section	.bss,"aw",@nobits
	.globl	__hip_cuid_19f36ae9495c41c4
__hip_cuid_19f36ae9495c41c4:
	.byte	0                               ; 0x0
	.size	__hip_cuid_19f36ae9495c41c4, 1

	.ident	"AMD clang version 19.0.0git (https://github.com/RadeonOpenCompute/llvm-project roc-6.4.0 25133 c7fe45cf4b819c5991fe208aaa96edf142730f1d)"
	.section	".note.GNU-stack","",@progbits
	.addrsig
	.addrsig_sym __hip_cuid_19f36ae9495c41c4
	.amdgpu_metadata
---
amdhsa.kernels:
  - .args:
      - .actual_access:  read_only
        .address_space:  global
        .offset:         0
        .size:           8
        .value_kind:     global_buffer
      - .offset:         8
        .size:           8
        .value_kind:     by_value
      - .actual_access:  read_only
        .address_space:  global
        .offset:         16
        .size:           8
        .value_kind:     global_buffer
      - .actual_access:  read_only
        .address_space:  global
        .offset:         24
        .size:           8
        .value_kind:     global_buffer
      - .actual_access:  read_only
        .address_space:  global
        .offset:         32
        .size:           8
        .value_kind:     global_buffer
      - .offset:         40
        .size:           8
        .value_kind:     by_value
      - .actual_access:  read_only
        .address_space:  global
        .offset:         48
        .size:           8
        .value_kind:     global_buffer
      - .actual_access:  read_only
        .address_space:  global
        .offset:         56
        .size:           8
        .value_kind:     global_buffer
      - .offset:         64
        .size:           4
        .value_kind:     by_value
      - .actual_access:  read_only
        .address_space:  global
        .offset:         72
        .size:           8
        .value_kind:     global_buffer
      - .actual_access:  read_only
        .address_space:  global
        .offset:         80
        .size:           8
        .value_kind:     global_buffer
      - .actual_access:  read_only
        .address_space:  global
        .offset:         88
        .size:           8
        .value_kind:     global_buffer
      - .actual_access:  write_only
        .address_space:  global
        .offset:         96
        .size:           8
        .value_kind:     global_buffer
    .group_segment_fixed_size: 0
    .kernarg_segment_align: 8
    .kernarg_segment_size: 104
    .language:       OpenCL C
    .language_version:
      - 2
      - 0
    .max_flat_workgroup_size: 120
    .name:           fft_rtc_fwd_len17_factors_17_wgs_120_tpt_1_half_op_CI_CI_sbrc_xy_z_diag_dirReg
    .private_segment_fixed_size: 0
    .sgpr_count:     24
    .sgpr_spill_count: 0
    .symbol:         fft_rtc_fwd_len17_factors_17_wgs_120_tpt_1_half_op_CI_CI_sbrc_xy_z_diag_dirReg.kd
    .uniform_work_group_size: 1
    .uses_dynamic_stack: false
    .vgpr_count:     77
    .vgpr_spill_count: 0
    .wavefront_size: 32
    .workgroup_processor_mode: 1
amdhsa.target:   amdgcn-amd-amdhsa--gfx1030
amdhsa.version:
  - 1
  - 2
...

	.end_amdgpu_metadata
